;; amdgpu-corpus repo=ROCm/rocFFT kind=compiled arch=gfx1030 opt=O3
	.text
	.amdgcn_target "amdgcn-amd-amdhsa--gfx1030"
	.amdhsa_code_object_version 6
	.protected	fft_rtc_fwd_len1232_factors_2_2_2_2_11_7_wgs_176_tpt_176_halfLds_dp_ip_CI_unitstride_sbrr_C2R_dirReg ; -- Begin function fft_rtc_fwd_len1232_factors_2_2_2_2_11_7_wgs_176_tpt_176_halfLds_dp_ip_CI_unitstride_sbrr_C2R_dirReg
	.globl	fft_rtc_fwd_len1232_factors_2_2_2_2_11_7_wgs_176_tpt_176_halfLds_dp_ip_CI_unitstride_sbrr_C2R_dirReg
	.p2align	8
	.type	fft_rtc_fwd_len1232_factors_2_2_2_2_11_7_wgs_176_tpt_176_halfLds_dp_ip_CI_unitstride_sbrr_C2R_dirReg,@function
fft_rtc_fwd_len1232_factors_2_2_2_2_11_7_wgs_176_tpt_176_halfLds_dp_ip_CI_unitstride_sbrr_C2R_dirReg: ; @fft_rtc_fwd_len1232_factors_2_2_2_2_11_7_wgs_176_tpt_176_halfLds_dp_ip_CI_unitstride_sbrr_C2R_dirReg
; %bb.0:
	s_clause 0x2
	s_load_dwordx4 s[8:11], s[4:5], 0x0
	s_load_dwordx2 s[2:3], s[4:5], 0x50
	s_load_dwordx2 s[12:13], s[4:5], 0x18
	v_mul_u32_u24_e32 v1, 0x175, v0
	v_mov_b32_e32 v3, 0
	v_add_nc_u32_sdwa v5, s6, v1 dst_sel:DWORD dst_unused:UNUSED_PAD src0_sel:DWORD src1_sel:WORD_1
	v_mov_b32_e32 v1, 0
	v_mov_b32_e32 v6, v3
	v_mov_b32_e32 v2, 0
	s_waitcnt lgkmcnt(0)
	v_cmp_lt_u64_e64 s0, s[10:11], 2
	s_and_b32 vcc_lo, exec_lo, s0
	s_cbranch_vccnz .LBB0_8
; %bb.1:
	s_load_dwordx2 s[0:1], s[4:5], 0x10
	v_mov_b32_e32 v1, 0
	s_add_u32 s6, s12, 8
	v_mov_b32_e32 v2, 0
	s_addc_u32 s7, s13, 0
	s_mov_b64 s[16:17], 1
	s_waitcnt lgkmcnt(0)
	s_add_u32 s14, s0, 8
	s_addc_u32 s15, s1, 0
.LBB0_2:                                ; =>This Inner Loop Header: Depth=1
	s_load_dwordx2 s[18:19], s[14:15], 0x0
                                        ; implicit-def: $vgpr7_vgpr8
	s_mov_b32 s0, exec_lo
	s_waitcnt lgkmcnt(0)
	v_or_b32_e32 v4, s19, v6
	v_cmpx_ne_u64_e32 0, v[3:4]
	s_xor_b32 s1, exec_lo, s0
	s_cbranch_execz .LBB0_4
; %bb.3:                                ;   in Loop: Header=BB0_2 Depth=1
	v_cvt_f32_u32_e32 v4, s18
	v_cvt_f32_u32_e32 v7, s19
	s_sub_u32 s0, 0, s18
	s_subb_u32 s20, 0, s19
	v_fmac_f32_e32 v4, 0x4f800000, v7
	v_rcp_f32_e32 v4, v4
	v_mul_f32_e32 v4, 0x5f7ffffc, v4
	v_mul_f32_e32 v7, 0x2f800000, v4
	v_trunc_f32_e32 v7, v7
	v_fmac_f32_e32 v4, 0xcf800000, v7
	v_cvt_u32_f32_e32 v7, v7
	v_cvt_u32_f32_e32 v4, v4
	v_mul_lo_u32 v8, s0, v7
	v_mul_hi_u32 v9, s0, v4
	v_mul_lo_u32 v10, s20, v4
	v_add_nc_u32_e32 v8, v9, v8
	v_mul_lo_u32 v9, s0, v4
	v_add_nc_u32_e32 v8, v8, v10
	v_mul_hi_u32 v10, v4, v9
	v_mul_lo_u32 v11, v4, v8
	v_mul_hi_u32 v12, v4, v8
	v_mul_hi_u32 v13, v7, v9
	v_mul_lo_u32 v9, v7, v9
	v_mul_hi_u32 v14, v7, v8
	v_mul_lo_u32 v8, v7, v8
	v_add_co_u32 v10, vcc_lo, v10, v11
	v_add_co_ci_u32_e32 v11, vcc_lo, 0, v12, vcc_lo
	v_add_co_u32 v9, vcc_lo, v10, v9
	v_add_co_ci_u32_e32 v9, vcc_lo, v11, v13, vcc_lo
	v_add_co_ci_u32_e32 v10, vcc_lo, 0, v14, vcc_lo
	v_add_co_u32 v8, vcc_lo, v9, v8
	v_add_co_ci_u32_e32 v9, vcc_lo, 0, v10, vcc_lo
	v_add_co_u32 v4, vcc_lo, v4, v8
	v_add_co_ci_u32_e32 v7, vcc_lo, v7, v9, vcc_lo
	v_mul_hi_u32 v8, s0, v4
	v_mul_lo_u32 v10, s20, v4
	v_mul_lo_u32 v9, s0, v7
	v_add_nc_u32_e32 v8, v8, v9
	v_mul_lo_u32 v9, s0, v4
	v_add_nc_u32_e32 v8, v8, v10
	v_mul_hi_u32 v10, v4, v9
	v_mul_lo_u32 v11, v4, v8
	v_mul_hi_u32 v12, v4, v8
	v_mul_hi_u32 v13, v7, v9
	v_mul_lo_u32 v9, v7, v9
	v_mul_hi_u32 v14, v7, v8
	v_mul_lo_u32 v8, v7, v8
	v_add_co_u32 v10, vcc_lo, v10, v11
	v_add_co_ci_u32_e32 v11, vcc_lo, 0, v12, vcc_lo
	v_add_co_u32 v9, vcc_lo, v10, v9
	v_add_co_ci_u32_e32 v9, vcc_lo, v11, v13, vcc_lo
	v_add_co_ci_u32_e32 v10, vcc_lo, 0, v14, vcc_lo
	v_add_co_u32 v8, vcc_lo, v9, v8
	v_add_co_ci_u32_e32 v9, vcc_lo, 0, v10, vcc_lo
	v_add_co_u32 v4, vcc_lo, v4, v8
	v_add_co_ci_u32_e32 v11, vcc_lo, v7, v9, vcc_lo
	v_mul_hi_u32 v13, v5, v4
	v_mad_u64_u32 v[9:10], null, v6, v4, 0
	v_mad_u64_u32 v[7:8], null, v5, v11, 0
	;; [unrolled: 1-line block ×3, first 2 shown]
	v_add_co_u32 v4, vcc_lo, v13, v7
	v_add_co_ci_u32_e32 v7, vcc_lo, 0, v8, vcc_lo
	v_add_co_u32 v4, vcc_lo, v4, v9
	v_add_co_ci_u32_e32 v4, vcc_lo, v7, v10, vcc_lo
	v_add_co_ci_u32_e32 v7, vcc_lo, 0, v12, vcc_lo
	v_add_co_u32 v4, vcc_lo, v4, v11
	v_add_co_ci_u32_e32 v9, vcc_lo, 0, v7, vcc_lo
	v_mul_lo_u32 v10, s19, v4
	v_mad_u64_u32 v[7:8], null, s18, v4, 0
	v_mul_lo_u32 v11, s18, v9
	v_sub_co_u32 v7, vcc_lo, v5, v7
	v_add3_u32 v8, v8, v11, v10
	v_sub_nc_u32_e32 v10, v6, v8
	v_subrev_co_ci_u32_e64 v10, s0, s19, v10, vcc_lo
	v_add_co_u32 v11, s0, v4, 2
	v_add_co_ci_u32_e64 v12, s0, 0, v9, s0
	v_sub_co_u32 v13, s0, v7, s18
	v_sub_co_ci_u32_e32 v8, vcc_lo, v6, v8, vcc_lo
	v_subrev_co_ci_u32_e64 v10, s0, 0, v10, s0
	v_cmp_le_u32_e32 vcc_lo, s18, v13
	v_cmp_eq_u32_e64 s0, s19, v8
	v_cndmask_b32_e64 v13, 0, -1, vcc_lo
	v_cmp_le_u32_e32 vcc_lo, s19, v10
	v_cndmask_b32_e64 v14, 0, -1, vcc_lo
	v_cmp_le_u32_e32 vcc_lo, s18, v7
	;; [unrolled: 2-line block ×3, first 2 shown]
	v_cndmask_b32_e64 v15, 0, -1, vcc_lo
	v_cmp_eq_u32_e32 vcc_lo, s19, v10
	v_cndmask_b32_e64 v7, v15, v7, s0
	v_cndmask_b32_e32 v10, v14, v13, vcc_lo
	v_add_co_u32 v13, vcc_lo, v4, 1
	v_add_co_ci_u32_e32 v14, vcc_lo, 0, v9, vcc_lo
	v_cmp_ne_u32_e32 vcc_lo, 0, v10
	v_cndmask_b32_e32 v8, v14, v12, vcc_lo
	v_cndmask_b32_e32 v10, v13, v11, vcc_lo
	v_cmp_ne_u32_e32 vcc_lo, 0, v7
	v_cndmask_b32_e32 v8, v9, v8, vcc_lo
	v_cndmask_b32_e32 v7, v4, v10, vcc_lo
.LBB0_4:                                ;   in Loop: Header=BB0_2 Depth=1
	s_andn2_saveexec_b32 s0, s1
	s_cbranch_execz .LBB0_6
; %bb.5:                                ;   in Loop: Header=BB0_2 Depth=1
	v_cvt_f32_u32_e32 v4, s18
	s_sub_i32 s1, 0, s18
	v_rcp_iflag_f32_e32 v4, v4
	v_mul_f32_e32 v4, 0x4f7ffffe, v4
	v_cvt_u32_f32_e32 v4, v4
	v_mul_lo_u32 v7, s1, v4
	v_mul_hi_u32 v7, v4, v7
	v_add_nc_u32_e32 v4, v4, v7
	v_mul_hi_u32 v4, v5, v4
	v_mul_lo_u32 v7, v4, s18
	v_add_nc_u32_e32 v8, 1, v4
	v_sub_nc_u32_e32 v7, v5, v7
	v_subrev_nc_u32_e32 v9, s18, v7
	v_cmp_le_u32_e32 vcc_lo, s18, v7
	v_cndmask_b32_e32 v7, v7, v9, vcc_lo
	v_cndmask_b32_e32 v4, v4, v8, vcc_lo
	v_cmp_le_u32_e32 vcc_lo, s18, v7
	v_add_nc_u32_e32 v8, 1, v4
	v_cndmask_b32_e32 v7, v4, v8, vcc_lo
	v_mov_b32_e32 v8, v3
.LBB0_6:                                ;   in Loop: Header=BB0_2 Depth=1
	s_or_b32 exec_lo, exec_lo, s0
	s_load_dwordx2 s[0:1], s[6:7], 0x0
	v_mul_lo_u32 v4, v8, s18
	v_mul_lo_u32 v11, v7, s19
	v_mad_u64_u32 v[9:10], null, v7, s18, 0
	s_add_u32 s16, s16, 1
	s_addc_u32 s17, s17, 0
	s_add_u32 s6, s6, 8
	s_addc_u32 s7, s7, 0
	;; [unrolled: 2-line block ×3, first 2 shown]
	v_add3_u32 v4, v10, v11, v4
	v_sub_co_u32 v5, vcc_lo, v5, v9
	v_sub_co_ci_u32_e32 v4, vcc_lo, v6, v4, vcc_lo
	s_waitcnt lgkmcnt(0)
	v_mul_lo_u32 v6, s1, v5
	v_mul_lo_u32 v4, s0, v4
	v_mad_u64_u32 v[1:2], null, s0, v5, v[1:2]
	v_cmp_ge_u64_e64 s0, s[16:17], s[10:11]
	s_and_b32 vcc_lo, exec_lo, s0
	v_add3_u32 v2, v6, v2, v4
	s_cbranch_vccnz .LBB0_9
; %bb.7:                                ;   in Loop: Header=BB0_2 Depth=1
	v_mov_b32_e32 v5, v7
	v_mov_b32_e32 v6, v8
	s_branch .LBB0_2
.LBB0_8:
	v_mov_b32_e32 v8, v6
	v_mov_b32_e32 v7, v5
.LBB0_9:
	s_lshl_b64 s[0:1], s[10:11], 3
	v_mul_hi_u32 v5, 0x1745d18, v0
	s_add_u32 s0, s12, s0
	s_addc_u32 s1, s13, s1
	s_load_dwordx2 s[0:1], s[0:1], 0x0
	s_load_dwordx2 s[4:5], s[4:5], 0x20
	s_waitcnt lgkmcnt(0)
	v_mul_lo_u32 v3, s0, v8
	v_mul_lo_u32 v4, s1, v7
	v_mad_u64_u32 v[1:2], null, s0, v7, v[1:2]
	v_cmp_gt_u64_e32 vcc_lo, s[4:5], v[7:8]
	v_add3_u32 v2, v4, v2, v3
	v_mul_u32_u24_e32 v3, 0xb0, v5
	v_lshlrev_b64 v[86:87], 4, v[1:2]
	v_sub_nc_u32_e32 v84, v0, v3
	s_and_saveexec_b32 s1, vcc_lo
	s_cbranch_execz .LBB0_13
; %bb.10:
	v_mov_b32_e32 v85, 0
	v_add_co_u32 v0, s0, s2, v86
	v_add_co_ci_u32_e64 v1, s0, s3, v87, s0
	v_lshlrev_b64 v[2:3], 4, v[84:85]
	v_lshl_add_u32 v30, v84, 4, 0
	s_mov_b32 s4, exec_lo
	v_add_co_u32 v10, s0, v0, v2
	v_add_co_ci_u32_e64 v11, s0, v1, v3, s0
	v_add_co_u32 v6, s0, 0x800, v10
	v_add_co_ci_u32_e64 v7, s0, 0, v11, s0
	;; [unrolled: 2-line block ×7, first 2 shown]
	s_clause 0x6
	global_load_dwordx4 v[2:5], v[10:11], off
	global_load_dwordx4 v[6:9], v[6:7], off offset:768
	global_load_dwordx4 v[10:13], v[12:13], off offset:1536
	;; [unrolled: 1-line block ×6, first 2 shown]
	s_waitcnt vmcnt(6)
	ds_write_b128 v30, v[2:5]
	s_waitcnt vmcnt(5)
	ds_write_b128 v30, v[6:9] offset:2816
	s_waitcnt vmcnt(4)
	ds_write_b128 v30, v[10:13] offset:5632
	;; [unrolled: 2-line block ×6, first 2 shown]
	v_cmpx_eq_u32_e32 0xaf, v84
	s_cbranch_execz .LBB0_12
; %bb.11:
	v_add_co_u32 v0, s0, 0x4800, v0
	v_add_co_ci_u32_e64 v1, s0, 0, v1, s0
	v_mov_b32_e32 v84, 0xaf
	global_load_dwordx4 v[0:3], v[0:1], off offset:1280
	s_waitcnt vmcnt(0)
	ds_write_b128 v85, v[0:3] offset:19712
.LBB0_12:
	s_or_b32 exec_lo, exec_lo, s4
.LBB0_13:
	s_or_b32 exec_lo, exec_lo, s1
	v_lshlrev_b32_e32 v38, 4, v84
	s_waitcnt lgkmcnt(0)
	s_barrier
	buffer_gl0_inv
	s_add_u32 s1, s8, 0x4ce0
	v_add_nc_u32_e32 v88, 0, v38
	v_sub_nc_u32_e32 v4, 0, v38
	s_addc_u32 s4, s9, 0
	s_mov_b32 s5, exec_lo
	ds_read_b64 v[2:3], v88
	ds_read_b64 v[5:6], v4 offset:19712
	s_waitcnt lgkmcnt(0)
	v_add_f64 v[0:1], v[2:3], v[5:6]
	v_add_f64 v[2:3], v[2:3], -v[5:6]
	v_cmpx_ne_u32_e32 0, v84
	s_xor_b32 s5, exec_lo, s5
	s_cbranch_execz .LBB0_15
; %bb.14:
	v_mov_b32_e32 v85, 0
	v_lshlrev_b64 v[5:6], 4, v[84:85]
	v_add_co_u32 v5, s0, s1, v5
	v_add_co_ci_u32_e64 v6, s0, s4, v6, s0
	global_load_dwordx4 v[5:8], v[5:6], off
	ds_read_b64 v[9:10], v4 offset:19720
	ds_read_b64 v[11:12], v88 offset:8
	s_waitcnt lgkmcnt(0)
	v_add_f64 v[13:14], v[9:10], v[11:12]
	v_add_f64 v[9:10], v[11:12], -v[9:10]
	s_waitcnt vmcnt(0)
	v_fma_f64 v[11:12], v[2:3], v[7:8], v[0:1]
	v_fma_f64 v[15:16], v[13:14], v[7:8], v[9:10]
	v_fma_f64 v[0:1], -v[2:3], v[7:8], v[0:1]
	v_fma_f64 v[17:18], v[13:14], v[7:8], -v[9:10]
	v_fma_f64 v[7:8], -v[13:14], v[5:6], v[11:12]
	v_fma_f64 v[9:10], v[2:3], v[5:6], v[15:16]
	v_fma_f64 v[0:1], v[13:14], v[5:6], v[0:1]
	;; [unrolled: 1-line block ×3, first 2 shown]
	ds_write_b128 v88, v[7:10]
	ds_write_b128 v4, v[0:3] offset:19712
                                        ; implicit-def: $vgpr0_vgpr1
.LBB0_15:
	s_andn2_saveexec_b32 s0, s5
	s_cbranch_execz .LBB0_17
; %bb.16:
	v_mov_b32_e32 v5, 0
	ds_write_b128 v88, v[0:3]
	ds_read_b128 v[0:3], v5 offset:9856
	s_waitcnt lgkmcnt(0)
	v_add_f64 v[0:1], v[0:1], v[0:1]
	v_mul_f64 v[2:3], v[2:3], -2.0
	ds_write_b128 v5, v[0:3] offset:9856
.LBB0_17:
	s_or_b32 exec_lo, exec_lo, s0
	v_add_nc_u32_e32 v34, 0xb0, v84
	v_mov_b32_e32 v35, 0
	v_add_nc_u32_e32 v36, 0x160, v84
	v_add_nc_u32_e32 v32, 0x210, v84
	v_lshlrev_b64 v[0:1], 4, v[34:35]
	v_mov_b32_e32 v37, v35
	v_lshlrev_b64 v[5:6], 4, v[36:37]
	v_add_co_u32 v0, s0, s1, v0
	v_add_co_ci_u32_e64 v1, s0, s4, v1, s0
	v_add_co_u32 v5, s0, s1, v5
	global_load_dwordx4 v[0:3], v[0:1], off
	v_add_co_ci_u32_e64 v6, s0, s4, v6, s0
	v_cmp_gt_u32_e64 s0, 0x58, v84
	global_load_dwordx4 v[5:8], v[5:6], off
	ds_read_b128 v[9:12], v88 offset:2816
	ds_read_b128 v[13:16], v4 offset:16896
	s_waitcnt lgkmcnt(0)
	v_add_f64 v[17:18], v[9:10], v[13:14]
	v_add_f64 v[19:20], v[15:16], v[11:12]
	v_add_f64 v[21:22], v[9:10], -v[13:14]
	v_add_f64 v[9:10], v[11:12], -v[15:16]
	s_waitcnt vmcnt(1)
	v_fma_f64 v[11:12], v[21:22], v[2:3], v[17:18]
	v_fma_f64 v[13:14], v[19:20], v[2:3], v[9:10]
	v_fma_f64 v[15:16], -v[21:22], v[2:3], v[17:18]
	v_fma_f64 v[2:3], v[19:20], v[2:3], -v[9:10]
	v_fma_f64 v[9:10], -v[19:20], v[0:1], v[11:12]
	v_fma_f64 v[11:12], v[21:22], v[0:1], v[13:14]
	v_fma_f64 v[13:14], v[19:20], v[0:1], v[15:16]
	;; [unrolled: 1-line block ×3, first 2 shown]
	ds_write_b128 v88, v[9:12] offset:2816
	ds_write_b128 v4, v[13:16] offset:16896
	ds_read_b128 v[0:3], v88 offset:5632
	ds_read_b128 v[9:12], v4 offset:14080
	s_waitcnt lgkmcnt(0)
	v_add_f64 v[13:14], v[0:1], v[9:10]
	v_add_f64 v[15:16], v[11:12], v[2:3]
	v_add_f64 v[9:10], v[0:1], -v[9:10]
	v_add_f64 v[0:1], v[2:3], -v[11:12]
	s_waitcnt vmcnt(0)
	v_fma_f64 v[2:3], v[9:10], v[7:8], v[13:14]
	v_fma_f64 v[11:12], v[15:16], v[7:8], v[0:1]
	v_fma_f64 v[13:14], -v[9:10], v[7:8], v[13:14]
	v_fma_f64 v[17:18], v[15:16], v[7:8], -v[0:1]
	v_fma_f64 v[0:1], -v[15:16], v[5:6], v[2:3]
	v_fma_f64 v[2:3], v[9:10], v[5:6], v[11:12]
	v_fma_f64 v[7:8], v[15:16], v[5:6], v[13:14]
	;; [unrolled: 1-line block ×3, first 2 shown]
	ds_write_b128 v88, v[0:3] offset:5632
	ds_write_b128 v4, v[7:10] offset:14080
	s_and_saveexec_b32 s5, s0
	s_cbranch_execz .LBB0_19
; %bb.18:
	v_mov_b32_e32 v33, v35
	v_lshlrev_b64 v[0:1], 4, v[32:33]
	v_add_co_u32 v0, s1, s1, v0
	v_add_co_ci_u32_e64 v1, s1, s4, v1, s1
	global_load_dwordx4 v[0:3], v[0:1], off
	ds_read_b128 v[5:8], v88 offset:8448
	ds_read_b128 v[9:12], v4 offset:11264
	s_waitcnt lgkmcnt(0)
	v_add_f64 v[13:14], v[5:6], v[9:10]
	v_add_f64 v[15:16], v[11:12], v[7:8]
	v_add_f64 v[17:18], v[5:6], -v[9:10]
	v_add_f64 v[5:6], v[7:8], -v[11:12]
	s_waitcnt vmcnt(0)
	v_fma_f64 v[7:8], v[17:18], v[2:3], v[13:14]
	v_fma_f64 v[9:10], v[15:16], v[2:3], v[5:6]
	v_fma_f64 v[11:12], -v[17:18], v[2:3], v[13:14]
	v_fma_f64 v[2:3], v[15:16], v[2:3], -v[5:6]
	v_fma_f64 v[5:6], -v[15:16], v[0:1], v[7:8]
	v_fma_f64 v[7:8], v[17:18], v[0:1], v[9:10]
	v_fma_f64 v[9:10], v[15:16], v[0:1], v[11:12]
	;; [unrolled: 1-line block ×3, first 2 shown]
	ds_write_b128 v88, v[5:8] offset:8448
	ds_write_b128 v4, v[9:12] offset:11264
.LBB0_19:
	s_or_b32 exec_lo, exec_lo, s5
	s_waitcnt lgkmcnt(0)
	s_barrier
	buffer_gl0_inv
	s_barrier
	buffer_gl0_inv
	ds_read_b128 v[0:3], v88 offset:9856
	ds_read_b128 v[8:11], v88
	ds_read_b128 v[12:15], v88 offset:2816
	ds_read_b128 v[4:7], v88 offset:12672
	ds_read_b128 v[16:19], v88 offset:15488
	ds_read_b128 v[20:23], v88 offset:5632
	ds_read_b128 v[24:27], v88 offset:8448
	ds_read_b128 v[28:31], v88 offset:18304
	v_add_nc_u32_e32 v35, v88, v38
	s_waitcnt lgkmcnt(0)
	s_barrier
	buffer_gl0_inv
	v_add_f64 v[39:40], v[8:9], -v[0:1]
	v_add_f64 v[41:42], v[10:11], -v[2:3]
	;; [unrolled: 1-line block ×8, first 2 shown]
	v_fma_f64 v[8:9], v[8:9], 2.0, -v[39:40]
	v_fma_f64 v[10:11], v[10:11], 2.0, -v[41:42]
	;; [unrolled: 1-line block ×8, first 2 shown]
	v_lshl_add_u32 v24, v34, 5, 0
	v_lshl_add_u32 v25, v36, 5, 0
	ds_write_b128 v35, v[39:42] offset:16
	ds_write_b128 v24, v[43:46] offset:16
	ds_write_b128 v35, v[8:11]
	ds_write_b128 v24, v[12:15]
	;; [unrolled: 1-line block ×3, first 2 shown]
	ds_write_b128 v25, v[16:19] offset:16
	s_and_saveexec_b32 s1, s0
	s_cbranch_execz .LBB0_21
; %bb.20:
	v_lshl_add_u32 v8, v32, 5, 0
	ds_write_b128 v8, v[0:3]
	ds_write_b128 v8, v[4:7] offset:16
.LBB0_21:
	s_or_b32 exec_lo, exec_lo, s1
	s_waitcnt lgkmcnt(0)
	s_barrier
	buffer_gl0_inv
	ds_read_b128 v[8:11], v88
	ds_read_b128 v[12:15], v88 offset:2816
	ds_read_b128 v[20:23], v88 offset:9856
	;; [unrolled: 1-line block ×5, first 2 shown]
	v_lshlrev_b32_e32 v34, 1, v34
	v_lshlrev_b32_e32 v33, 1, v36
	v_sub_nc_u32_e32 v36, v35, v38
	s_and_saveexec_b32 s1, s0
	s_cbranch_execz .LBB0_23
; %bb.22:
	ds_read_b128 v[0:3], v36 offset:8448
	ds_read_b128 v[4:7], v88 offset:18304
.LBB0_23:
	s_or_b32 exec_lo, exec_lo, s1
	v_and_b32_e32 v37, 1, v84
	v_lshlrev_b32_e32 v32, 1, v32
	v_lshlrev_b32_e32 v35, 4, v37
	global_load_dwordx4 v[38:41], v35, s[8:9]
	v_lshlrev_b32_e32 v35, 1, v84
	s_waitcnt vmcnt(0) lgkmcnt(0)
	s_barrier
	buffer_gl0_inv
	v_mul_f64 v[42:43], v[22:23], v[40:41]
	v_mul_f64 v[44:45], v[20:21], v[40:41]
	;; [unrolled: 1-line block ×8, first 2 shown]
	v_fma_f64 v[20:21], v[20:21], v[38:39], -v[42:43]
	v_fma_f64 v[22:23], v[22:23], v[38:39], v[44:45]
	v_fma_f64 v[28:29], v[28:29], v[38:39], -v[46:47]
	v_fma_f64 v[30:31], v[30:31], v[38:39], v[48:49]
	;; [unrolled: 2-line block ×4, first 2 shown]
	v_and_or_b32 v38, 0x1fc, v35, v37
	v_and_or_b32 v39, 0x3fc, v34, v37
	;; [unrolled: 1-line block ×3, first 2 shown]
	v_lshl_add_u32 v38, v38, 4, 0
	v_lshl_add_u32 v39, v39, 4, 0
	;; [unrolled: 1-line block ×3, first 2 shown]
	v_add_f64 v[20:21], v[8:9], -v[20:21]
	v_add_f64 v[22:23], v[10:11], -v[22:23]
	;; [unrolled: 1-line block ×8, first 2 shown]
	v_fma_f64 v[8:9], v[8:9], 2.0, -v[20:21]
	v_fma_f64 v[10:11], v[10:11], 2.0, -v[22:23]
	;; [unrolled: 1-line block ×8, first 2 shown]
	ds_write_b128 v38, v[20:23] offset:32
	ds_write_b128 v38, v[8:11]
	ds_write_b128 v39, v[12:15]
	ds_write_b128 v39, v[24:27] offset:32
	ds_write_b128 v40, v[16:19]
	ds_write_b128 v40, v[28:31] offset:32
	s_and_saveexec_b32 s1, s0
	s_cbranch_execz .LBB0_25
; %bb.24:
	v_and_or_b32 v8, 0x5fc, v32, v37
	v_lshl_add_u32 v8, v8, 4, 0
	ds_write_b128 v8, v[0:3]
	ds_write_b128 v8, v[4:7] offset:32
.LBB0_25:
	s_or_b32 exec_lo, exec_lo, s1
	s_waitcnt lgkmcnt(0)
	s_barrier
	buffer_gl0_inv
	ds_read_b128 v[8:11], v88
	ds_read_b128 v[12:15], v88 offset:2816
	ds_read_b128 v[20:23], v88 offset:9856
	;; [unrolled: 1-line block ×5, first 2 shown]
	s_and_saveexec_b32 s1, s0
	s_cbranch_execz .LBB0_27
; %bb.26:
	ds_read_b128 v[0:3], v36 offset:8448
	ds_read_b128 v[4:7], v88 offset:18304
.LBB0_27:
	s_or_b32 exec_lo, exec_lo, s1
	v_and_b32_e32 v36, 3, v84
	v_lshlrev_b32_e32 v37, 4, v36
	global_load_dwordx4 v[37:40], v37, s[8:9] offset:32
	s_waitcnt vmcnt(0) lgkmcnt(0)
	s_barrier
	buffer_gl0_inv
	v_mul_f64 v[41:42], v[22:23], v[39:40]
	v_mul_f64 v[43:44], v[20:21], v[39:40]
	;; [unrolled: 1-line block ×8, first 2 shown]
	v_fma_f64 v[20:21], v[20:21], v[37:38], -v[41:42]
	v_fma_f64 v[22:23], v[22:23], v[37:38], v[43:44]
	v_fma_f64 v[28:29], v[28:29], v[37:38], -v[45:46]
	v_fma_f64 v[30:31], v[30:31], v[37:38], v[47:48]
	;; [unrolled: 2-line block ×4, first 2 shown]
	v_add_f64 v[20:21], v[8:9], -v[20:21]
	v_add_f64 v[22:23], v[10:11], -v[22:23]
	;; [unrolled: 1-line block ×8, first 2 shown]
	v_fma_f64 v[8:9], v[8:9], 2.0, -v[20:21]
	v_fma_f64 v[10:11], v[10:11], 2.0, -v[22:23]
	;; [unrolled: 1-line block ×8, first 2 shown]
	v_and_or_b32 v0, 0x1f8, v35, v36
	v_and_or_b32 v1, 0x3f8, v34, v36
	;; [unrolled: 1-line block ×3, first 2 shown]
	v_lshl_add_u32 v0, v0, 4, 0
	v_lshl_add_u32 v1, v1, 4, 0
	;; [unrolled: 1-line block ×3, first 2 shown]
	ds_write_b128 v0, v[20:23] offset:64
	ds_write_b128 v0, v[8:11]
	ds_write_b128 v1, v[12:15]
	ds_write_b128 v1, v[28:31] offset:64
	ds_write_b128 v2, v[16:19]
	ds_write_b128 v2, v[37:40] offset:64
	s_and_saveexec_b32 s1, s0
	s_cbranch_execz .LBB0_29
; %bb.28:
	v_and_or_b32 v0, 0x5f8, v32, v36
	v_lshl_add_u32 v0, v0, 4, 0
	ds_write_b128 v0, v[24:27]
	ds_write_b128 v0, v[4:7] offset:64
.LBB0_29:
	s_or_b32 exec_lo, exec_lo, s1
	s_waitcnt lgkmcnt(0)
	s_barrier
	buffer_gl0_inv
	ds_read_b128 v[0:3], v88
	ds_read_b128 v[12:15], v88 offset:2816
	ds_read_b128 v[8:11], v88 offset:9856
	;; [unrolled: 1-line block ×5, first 2 shown]
	s_and_saveexec_b32 s1, s0
	s_cbranch_execz .LBB0_31
; %bb.30:
	ds_read_b128 v[24:27], v88 offset:8448
	ds_read_b128 v[4:7], v88 offset:18304
.LBB0_31:
	s_or_b32 exec_lo, exec_lo, s1
	v_and_b32_e32 v36, 7, v84
	v_lshlrev_b32_e32 v37, 4, v36
	v_and_or_b32 v35, 0x1f0, v35, v36
	v_and_or_b32 v34, 0x3f0, v34, v36
	;; [unrolled: 1-line block ×3, first 2 shown]
	global_load_dwordx4 v[37:40], v37, s[8:9] offset:96
	v_lshl_add_u32 v35, v35, 4, 0
	v_lshl_add_u32 v34, v34, 4, 0
	;; [unrolled: 1-line block ×3, first 2 shown]
	s_waitcnt vmcnt(0) lgkmcnt(0)
	s_barrier
	buffer_gl0_inv
	v_mul_f64 v[41:42], v[10:11], v[39:40]
	v_mul_f64 v[43:44], v[8:9], v[39:40]
	;; [unrolled: 1-line block ×8, first 2 shown]
	v_fma_f64 v[8:9], v[8:9], v[37:38], -v[41:42]
	v_fma_f64 v[10:11], v[10:11], v[37:38], v[43:44]
	v_fma_f64 v[28:29], v[28:29], v[37:38], -v[45:46]
	v_fma_f64 v[30:31], v[30:31], v[37:38], v[47:48]
	;; [unrolled: 2-line block ×4, first 2 shown]
	v_add_f64 v[4:5], v[0:1], -v[8:9]
	v_add_f64 v[6:7], v[2:3], -v[10:11]
	v_add_f64 v[8:9], v[12:13], -v[28:29]
	v_add_f64 v[10:11], v[14:15], -v[30:31]
	v_add_f64 v[16:17], v[20:21], -v[16:17]
	v_add_f64 v[18:19], v[22:23], -v[18:19]
	v_add_f64 v[28:29], v[24:25], -v[41:42]
	v_add_f64 v[30:31], v[26:27], -v[37:38]
	v_fma_f64 v[0:1], v[0:1], 2.0, -v[4:5]
	v_fma_f64 v[2:3], v[2:3], 2.0, -v[6:7]
	;; [unrolled: 1-line block ×8, first 2 shown]
	ds_write_b128 v35, v[4:7] offset:128
	ds_write_b128 v35, v[0:3]
	ds_write_b128 v34, v[12:15]
	ds_write_b128 v34, v[8:11] offset:128
	ds_write_b128 v33, v[20:23]
	ds_write_b128 v33, v[16:19] offset:128
	s_and_saveexec_b32 s1, s0
	s_cbranch_execz .LBB0_33
; %bb.32:
	v_and_or_b32 v32, 0x5f0, v32, v36
	v_lshl_add_u32 v32, v32, 4, 0
	ds_write_b128 v32, v[24:27]
	ds_write_b128 v32, v[28:31] offset:128
.LBB0_33:
	s_or_b32 exec_lo, exec_lo, s1
	v_cmp_gt_u32_e64 s0, 0x70, v84
	s_waitcnt lgkmcnt(0)
	s_barrier
	buffer_gl0_inv
                                        ; implicit-def: $vgpr42_vgpr43
                                        ; implicit-def: $vgpr38_vgpr39
                                        ; implicit-def: $vgpr34_vgpr35
	s_and_saveexec_b32 s1, s0
	s_cbranch_execz .LBB0_35
; %bb.34:
	ds_read_b128 v[0:3], v88
	ds_read_b128 v[4:7], v88 offset:1792
	ds_read_b128 v[12:15], v88 offset:3584
	;; [unrolled: 1-line block ×10, first 2 shown]
.LBB0_35:
	s_or_b32 exec_lo, exec_lo, s1
	s_waitcnt lgkmcnt(0)
	s_barrier
	buffer_gl0_inv
	s_and_saveexec_b32 s33, s0
	s_cbranch_execz .LBB0_37
; %bb.36:
	v_and_b32_e32 v85, 15, v84
	s_mov_b32 s4, 0x640f44db
	s_mov_b32 s10, 0x43842ef
	;; [unrolled: 1-line block ×4, first 2 shown]
	v_mul_u32_u24_e32 v44, 10, v85
	s_mov_b32 s6, 0x7f775887
	s_mov_b32 s0, 0x9bcd5057
	;; [unrolled: 1-line block ×4, first 2 shown]
	v_lshlrev_b32_e32 v60, 4, v44
	s_mov_b32 s20, 0xf8bb580b
	s_mov_b32 s22, 0xfd768dbf
	;; [unrolled: 1-line block ×4, first 2 shown]
	s_clause 0x9
	global_load_dwordx4 v[44:47], v60, s[8:9] offset:224
	global_load_dwordx4 v[52:55], v60, s[8:9] offset:368
	;; [unrolled: 1-line block ×10, first 2 shown]
	s_mov_b32 s13, 0x3fda9628
	s_mov_b32 s17, 0xbfed1bb4
	;; [unrolled: 1-line block ×14, first 2 shown]
	v_lshrrev_b32_e32 v109, 4, v84
	s_mov_b32 s27, 0x3fed1bb4
	s_mov_b32 s35, 0x3fe14ced
	;; [unrolled: 1-line block ×4, first 2 shown]
	v_mul_u32_u24_e32 v253, 0xb0, v109
	s_waitcnt vmcnt(9)
	v_mul_f64 v[89:90], v[4:5], v[46:47]
	v_mul_f64 v[46:47], v[6:7], v[46:47]
	s_waitcnt vmcnt(8)
	v_mul_f64 v[91:92], v[40:41], v[54:55]
	v_mul_f64 v[54:55], v[42:43], v[54:55]
	;; [unrolled: 3-line block ×4, first 2 shown]
	v_mul_f64 v[95:96], v[36:37], v[82:83]
	s_waitcnt vmcnt(4)
	v_mul_f64 v[99:100], v[32:33], v[74:75]
	s_waitcnt vmcnt(3)
	;; [unrolled: 2-line block ×5, first 2 shown]
	v_mul_f64 v[107:108], v[24:25], v[62:63]
	v_mul_f64 v[66:67], v[22:23], v[66:67]
	;; [unrolled: 1-line block ×7, first 2 shown]
	v_fma_f64 v[6:7], v[6:7], v[44:45], v[89:90]
	v_fma_f64 v[4:5], v[4:5], v[44:45], -v[46:47]
	v_fma_f64 v[42:43], v[42:43], v[52:53], v[91:92]
	v_fma_f64 v[40:41], v[40:41], v[52:53], -v[54:55]
	;; [unrolled: 2-line block ×4, first 2 shown]
	v_fma_f64 v[38:39], v[38:39], v[80:81], v[95:96]
	v_fma_f64 v[34:35], v[34:35], v[72:73], v[99:100]
	;; [unrolled: 1-line block ×6, first 2 shown]
	v_fma_f64 v[20:21], v[20:21], v[64:65], -v[66:67]
	v_fma_f64 v[36:37], v[36:37], v[80:81], -v[82:83]
	;; [unrolled: 1-line block ×6, first 2 shown]
	v_add_f64 v[44:45], v[6:7], v[42:43]
	v_add_f64 v[46:47], v[4:5], -v[40:41]
	v_add_f64 v[48:49], v[6:7], -v[42:43]
	v_add_f64 v[50:51], v[4:5], v[40:41]
	v_add_f64 v[6:7], v[2:3], v[6:7]
	;; [unrolled: 1-line block ×4, first 2 shown]
	v_add_f64 v[56:57], v[14:15], -v[38:39]
	v_add_f64 v[60:61], v[10:11], v[34:35]
	v_add_f64 v[64:65], v[10:11], -v[34:35]
	v_add_f64 v[68:69], v[22:23], v[30:31]
	;; [unrolled: 2-line block ×3, first 2 shown]
	v_add_f64 v[74:75], v[18:19], -v[26:27]
	v_add_f64 v[54:55], v[12:13], -v[36:37]
	v_add_f64 v[58:59], v[12:13], v[36:37]
	v_add_f64 v[62:63], v[8:9], -v[32:33]
	v_add_f64 v[66:67], v[8:9], v[32:33]
	;; [unrolled: 2-line block ×4, first 2 shown]
	v_mul_f64 v[89:90], v[44:45], s[0:1]
	v_mul_f64 v[91:92], v[44:45], s[6:7]
	v_mul_f64 v[93:94], v[44:45], s[4:5]
	v_mul_f64 v[95:96], v[44:45], s[12:13]
	v_add_f64 v[6:7], v[6:7], v[14:15]
	v_add_f64 v[4:5], v[4:5], v[12:13]
	v_mul_f64 v[44:45], v[44:45], s[18:19]
	v_mul_f64 v[97:98], v[48:49], s[28:29]
	;; [unrolled: 1-line block ×20, first 2 shown]
	v_add_f64 v[6:7], v[6:7], v[10:11]
	v_add_f64 v[4:5], v[4:5], v[8:9]
	v_mul_f64 v[133:134], v[72:73], s[12:13]
	v_mul_f64 v[135:136], v[74:75], s[26:27]
	;; [unrolled: 1-line block ×20, first 2 shown]
	v_add_f64 v[6:7], v[6:7], v[22:23]
	v_add_f64 v[4:5], v[4:5], v[20:21]
	v_mul_f64 v[60:61], v[60:61], s[4:5]
	v_mul_f64 v[64:65], v[64:65], s[24:25]
	;; [unrolled: 1-line block ×6, first 2 shown]
	v_fma_f64 v[12:13], v[46:47], s[22:23], v[89:90]
	v_fma_f64 v[14:15], v[46:47], s[28:29], v[89:90]
	;; [unrolled: 1-line block ×13, first 2 shown]
	v_fma_f64 v[48:49], v[50:51], s[18:19], -v[48:49]
	v_fma_f64 v[97:98], v[50:51], s[0:1], -v[97:98]
	v_fma_f64 v[179:180], v[50:51], s[12:13], v[103:104]
	v_fma_f64 v[103:104], v[50:51], s[12:13], -v[103:104]
	v_fma_f64 v[99:100], v[50:51], s[6:7], -v[99:100]
	v_fma_f64 v[177:178], v[50:51], s[4:5], v[101:102]
	v_fma_f64 v[101:102], v[50:51], s[4:5], -v[101:102]
	v_add_f64 v[6:7], v[6:7], v[18:19]
	v_add_f64 v[4:5], v[4:5], v[16:17]
	v_fma_f64 v[50:51], v[54:55], s[20:21], v[105:106]
	v_fma_f64 v[183:184], v[58:59], s[18:19], v[107:108]
	v_fma_f64 v[185:186], v[62:63], s[14:15], v[109:110]
	v_fma_f64 v[187:188], v[66:67], s[6:7], v[111:112]
	v_fma_f64 v[189:190], v[76:77], s[16:17], v[113:114]
	v_fma_f64 v[191:192], v[78:79], s[12:13], v[115:116]
	v_fma_f64 v[193:194], v[80:81], s[10:11], v[117:118]
	v_fma_f64 v[195:196], v[82:83], s[4:5], v[119:120]
	v_fma_f64 v[105:106], v[54:55], s[34:35], v[105:106]
	v_fma_f64 v[107:108], v[58:59], s[18:19], -v[107:108]
	v_fma_f64 v[109:110], v[62:63], s[30:31], v[109:110]
	v_fma_f64 v[111:112], v[66:67], s[6:7], -v[111:112]
	v_fma_f64 v[113:114], v[76:77], s[26:27], v[113:114]
	v_fma_f64 v[115:116], v[78:79], s[12:13], -v[115:116]
	v_fma_f64 v[117:118], v[80:81], s[24:25], v[117:118]
	v_fma_f64 v[119:120], v[82:83], s[4:5], -v[119:120]
	v_fma_f64 v[197:198], v[54:55], s[24:25], v[121:122]
	v_fma_f64 v[199:200], v[58:59], s[4:5], v[123:124]
	v_fma_f64 v[201:202], v[62:63], s[34:35], v[125:126]
	v_fma_f64 v[203:204], v[66:67], s[18:19], v[127:128]
	v_fma_f64 v[205:206], v[76:77], s[22:23], v[129:130]
	v_fma_f64 v[207:208], v[78:79], s[0:1], v[131:132]
	v_fma_f64 v[209:210], v[80:81], s[16:17], v[133:134]
	v_fma_f64 v[211:212], v[82:83], s[12:13], v[135:136]
	v_fma_f64 v[121:122], v[54:55], s[10:11], v[121:122]
	v_fma_f64 v[123:124], v[58:59], s[4:5], -v[123:124]
	v_fma_f64 v[125:126], v[62:63], s[20:21], v[125:126]
	v_fma_f64 v[127:128], v[66:67], s[18:19], -v[127:128]
	v_fma_f64 v[129:130], v[76:77], s[28:29], v[129:130]
	v_fma_f64 v[131:132], v[78:79], s[0:1], -v[131:132]
	v_fma_f64 v[133:134], v[80:81], s[26:27], v[133:134]
	v_fma_f64 v[135:136], v[82:83], s[12:13], -v[135:136]
	;; [unrolled: 16-line block ×3, first 2 shown]
	v_fma_f64 v[149:150], v[54:55], s[30:31], v[153:154]
	v_fma_f64 v[151:152], v[58:59], s[6:7], -v[155:156]
	v_fma_f64 v[229:230], v[62:63], s[22:23], v[157:158]
	v_fma_f64 v[231:232], v[66:67], s[0:1], -v[159:160]
	;; [unrolled: 2-line block ×8, first 2 shown]
	v_fma_f64 v[153:154], v[54:55], s[14:15], v[153:154]
	v_fma_f64 v[52:53], v[54:55], s[26:27], v[52:53]
	;; [unrolled: 1-line block ×16, first 2 shown]
	v_add_f64 v[16:17], v[0:1], v[46:47]
	v_add_f64 v[46:47], v[2:3], v[89:90]
	;; [unrolled: 1-line block ×93, first 2 shown]
	v_or_b32_e32 v44, v253, v85
	v_add_f64 v[22:23], v[237:238], v[34:35]
	v_add_f64 v[20:21], v[239:240], v[46:47]
	;; [unrolled: 1-line block ×17, first 2 shown]
	v_lshl_add_u32 v44, v44, 4, 0
	ds_write_b128 v44, v[24:27] offset:256
	ds_write_b128 v44, v[20:23] offset:512
	;; [unrolled: 1-line block ×9, first 2 shown]
	ds_write_b128 v44, v[40:43]
	ds_write_b128 v44, v[36:39] offset:2560
.LBB0_37:
	s_or_b32 exec_lo, exec_lo, s33
	v_mul_u32_u24_e32 v0, 6, v84
	s_waitcnt lgkmcnt(0)
	s_barrier
	buffer_gl0_inv
	s_mov_b32 s4, 0x36b3c0b5
	v_lshlrev_b32_e32 v0, 4, v0
	s_mov_b32 s6, 0xe976ee23
	s_mov_b32 s5, 0x3fac98ee
	;; [unrolled: 1-line block ×4, first 2 shown]
	v_add_co_u32 v0, s0, s8, v0
	v_add_co_ci_u32_e64 v1, null, s9, 0, s0
	s_mov_b32 s9, 0x3fe77f67
	v_add_co_u32 v20, s0, 0xae0, v0
	v_add_co_ci_u32_e64 v21, s0, 0, v1, s0
	v_add_co_u32 v12, s0, 0x800, v0
	v_add_co_ci_u32_e64 v13, s0, 0, v1, s0
	;; [unrolled: 2-line block ×3, first 2 shown]
	s_clause 0x5
	global_load_dwordx4 v[0:3], v[12:13], off offset:736
	global_load_dwordx4 v[4:7], v[20:21], off offset:16
	;; [unrolled: 1-line block ×6, first 2 shown]
	ds_read_b128 v[24:27], v88 offset:2816
	ds_read_b128 v[28:31], v88 offset:5632
	;; [unrolled: 1-line block ×6, first 2 shown]
	s_mov_b32 s0, 0x37e14327
	s_mov_b32 s1, 0x3fe948f6
	;; [unrolled: 1-line block ×4, first 2 shown]
	s_waitcnt vmcnt(5) lgkmcnt(5)
	v_mul_f64 v[48:49], v[26:27], v[2:3]
	v_mul_f64 v[2:3], v[24:25], v[2:3]
	s_waitcnt vmcnt(4) lgkmcnt(4)
	v_mul_f64 v[50:51], v[30:31], v[6:7]
	v_mul_f64 v[6:7], v[28:29], v[6:7]
	;; [unrolled: 3-line block ×6, first 2 shown]
	v_fma_f64 v[24:25], v[24:25], v[0:1], -v[48:49]
	v_fma_f64 v[0:1], v[26:27], v[0:1], v[2:3]
	v_fma_f64 v[2:3], v[28:29], v[4:5], -v[50:51]
	v_fma_f64 v[4:5], v[30:31], v[4:5], v[6:7]
	;; [unrolled: 2-line block ×6, first 2 shown]
	v_add_f64 v[22:23], v[24:25], v[6:7]
	v_add_f64 v[26:27], v[0:1], v[8:9]
	;; [unrolled: 1-line block ×4, first 2 shown]
	v_add_f64 v[10:11], v[2:3], -v[10:11]
	v_add_f64 v[4:5], v[4:5], -v[12:13]
	v_add_f64 v[32:33], v[14:15], v[18:19]
	v_add_f64 v[34:35], v[16:17], v[20:21]
	v_add_f64 v[12:13], v[18:19], -v[14:15]
	v_add_f64 v[14:15], v[20:21], -v[16:17]
	v_add_f64 v[6:7], v[24:25], -v[6:7]
	v_add_f64 v[8:9], v[0:1], -v[8:9]
	ds_read_b128 v[0:3], v88
	s_waitcnt lgkmcnt(0)
	s_barrier
	buffer_gl0_inv
	v_add_f64 v[16:17], v[28:29], v[22:23]
	v_add_f64 v[18:19], v[30:31], v[26:27]
	v_add_f64 v[20:21], v[22:23], -v[32:33]
	v_add_f64 v[24:25], v[26:27], -v[34:35]
	;; [unrolled: 1-line block ×10, first 2 shown]
	v_add_f64 v[10:11], v[12:13], v[10:11]
	v_add_f64 v[4:5], v[14:15], v[4:5]
	v_add_f64 v[12:13], v[6:7], -v[12:13]
	v_add_f64 v[14:15], v[8:9], -v[14:15]
	v_add_f64 v[16:17], v[32:33], v[16:17]
	v_add_f64 v[18:19], v[34:35], v[18:19]
	v_mul_f64 v[20:21], v[20:21], s[0:1]
	v_mul_f64 v[24:25], v[24:25], s[0:1]
	s_mov_b32 s0, 0x429ad128
	v_mul_f64 v[28:29], v[36:37], s[4:5]
	v_mul_f64 v[30:31], v[38:39], s[4:5]
	;; [unrolled: 1-line block ×4, first 2 shown]
	s_mov_b32 s1, 0x3febfeb5
	s_mov_b32 s6, 0xaaaaaaaa
	v_mul_f64 v[40:41], v[44:45], s[0:1]
	v_mul_f64 v[42:43], v[46:47], s[0:1]
	s_mov_b32 s7, 0xbff2aaaa
	v_add_f64 v[6:7], v[10:11], v[6:7]
	v_add_f64 v[4:5], v[4:5], v[8:9]
	;; [unrolled: 1-line block ×4, first 2 shown]
	v_fma_f64 v[8:9], v[36:37], s[4:5], v[20:21]
	v_fma_f64 v[10:11], v[38:39], s[4:5], v[24:25]
	v_fma_f64 v[28:29], v[22:23], s[8:9], -v[28:29]
	v_fma_f64 v[30:31], v[26:27], s[8:9], -v[30:31]
	s_mov_b32 s9, 0xbfe77f67
	v_fma_f64 v[36:37], v[12:13], s[10:11], v[32:33]
	v_fma_f64 v[38:39], v[14:15], s[10:11], v[34:35]
	s_mov_b32 s11, 0xbfd5d0dc
	v_fma_f64 v[20:21], v[22:23], s[8:9], -v[20:21]
	v_fma_f64 v[12:13], v[12:13], s[10:11], -v[40:41]
	;; [unrolled: 1-line block ×6, first 2 shown]
	s_mov_b32 s0, 0x37c3f68c
	s_mov_b32 s1, 0x3fdc38aa
	v_fma_f64 v[16:17], v[16:17], s[6:7], v[0:1]
	v_fma_f64 v[18:19], v[18:19], s[6:7], v[2:3]
	;; [unrolled: 1-line block ×8, first 2 shown]
	v_add_f64 v[40:41], v[8:9], v[16:17]
	v_add_f64 v[42:43], v[10:11], v[18:19]
	;; [unrolled: 1-line block ×7, first 2 shown]
	v_add_f64 v[6:7], v[42:43], -v[26:27]
	v_add_f64 v[8:9], v[38:39], v[20:21]
	v_add_f64 v[10:11], v[22:23], -v[36:37]
	v_add_f64 v[12:13], v[16:17], -v[34:35]
	v_add_f64 v[14:15], v[32:33], v[18:19]
	v_add_f64 v[16:17], v[34:35], v[16:17]
	v_add_f64 v[18:19], v[18:19], -v[32:33]
	v_add_f64 v[20:21], v[20:21], -v[38:39]
	v_add_f64 v[22:23], v[36:37], v[22:23]
	v_add_f64 v[24:25], v[40:41], -v[24:25]
	v_add_f64 v[26:27], v[26:27], v[42:43]
	ds_write_b128 v88, v[0:3]
	ds_write_b128 v88, v[4:7] offset:2816
	ds_write_b128 v88, v[8:11] offset:5632
	;; [unrolled: 1-line block ×6, first 2 shown]
	s_waitcnt lgkmcnt(0)
	s_barrier
	buffer_gl0_inv
	s_and_saveexec_b32 s0, vcc_lo
	s_cbranch_execz .LBB0_39
; %bb.38:
	v_lshl_add_u32 v16, v84, 4, 0
	v_mov_b32_e32 v85, 0
	v_add_nc_u32_e32 v8, 0xb0, v84
	v_add_co_u32 v30, vcc_lo, s2, v86
	ds_read_b128 v[0:3], v16
	ds_read_b128 v[4:7], v16 offset:2816
	v_mov_b32_e32 v9, v85
	v_lshlrev_b64 v[10:11], 4, v[84:85]
	v_add_co_ci_u32_e32 v31, vcc_lo, s3, v87, vcc_lo
	v_add_nc_u32_e32 v12, 0x160, v84
	v_lshlrev_b64 v[8:9], 4, v[8:9]
	v_mov_b32_e32 v13, v85
	v_add_co_u32 v10, vcc_lo, v30, v10
	v_add_co_ci_u32_e32 v11, vcc_lo, v31, v11, vcc_lo
	v_add_co_u32 v8, vcc_lo, v30, v8
	v_add_nc_u32_e32 v14, 0x210, v84
	v_mov_b32_e32 v15, v85
	v_add_co_ci_u32_e32 v9, vcc_lo, v31, v9, vcc_lo
	v_lshlrev_b64 v[12:13], 4, v[12:13]
	v_add_nc_u32_e32 v24, 0x370, v84
	s_waitcnt lgkmcnt(1)
	global_store_dwordx4 v[10:11], v[0:3], off
	s_waitcnt lgkmcnt(0)
	global_store_dwordx4 v[8:9], v[4:7], off
	v_lshlrev_b64 v[8:9], 4, v[14:15]
	v_add_nc_u32_e32 v10, 0x2c0, v84
	v_mov_b32_e32 v11, v85
	v_add_co_u32 v20, vcc_lo, v30, v12
	v_add_co_ci_u32_e32 v21, vcc_lo, v31, v13, vcc_lo
	v_add_co_u32 v22, vcc_lo, v30, v8
	ds_read_b128 v[0:3], v16 offset:5632
	ds_read_b128 v[4:7], v16 offset:8448
	v_add_co_ci_u32_e32 v23, vcc_lo, v31, v9, vcc_lo
	v_lshlrev_b64 v[26:27], 4, v[10:11]
	ds_read_b128 v[8:11], v16 offset:11264
	ds_read_b128 v[12:15], v16 offset:14080
	;; [unrolled: 1-line block ×3, first 2 shown]
	v_mov_b32_e32 v25, v85
	v_add_nc_u32_e32 v84, 0x420, v84
	v_add_co_u32 v26, vcc_lo, v30, v26
	v_lshlrev_b64 v[24:25], 4, v[24:25]
	v_lshlrev_b64 v[28:29], 4, v[84:85]
	v_add_co_ci_u32_e32 v27, vcc_lo, v31, v27, vcc_lo
	v_add_co_u32 v24, vcc_lo, v30, v24
	v_add_co_ci_u32_e32 v25, vcc_lo, v31, v25, vcc_lo
	v_add_co_u32 v28, vcc_lo, v30, v28
	v_add_co_ci_u32_e32 v29, vcc_lo, v31, v29, vcc_lo
	s_waitcnt lgkmcnt(4)
	global_store_dwordx4 v[20:21], v[0:3], off
	s_waitcnt lgkmcnt(3)
	global_store_dwordx4 v[22:23], v[4:7], off
	;; [unrolled: 2-line block ×5, first 2 shown]
.LBB0_39:
	s_endpgm
	.section	.rodata,"a",@progbits
	.p2align	6, 0x0
	.amdhsa_kernel fft_rtc_fwd_len1232_factors_2_2_2_2_11_7_wgs_176_tpt_176_halfLds_dp_ip_CI_unitstride_sbrr_C2R_dirReg
		.amdhsa_group_segment_fixed_size 0
		.amdhsa_private_segment_fixed_size 0
		.amdhsa_kernarg_size 88
		.amdhsa_user_sgpr_count 6
		.amdhsa_user_sgpr_private_segment_buffer 1
		.amdhsa_user_sgpr_dispatch_ptr 0
		.amdhsa_user_sgpr_queue_ptr 0
		.amdhsa_user_sgpr_kernarg_segment_ptr 1
		.amdhsa_user_sgpr_dispatch_id 0
		.amdhsa_user_sgpr_flat_scratch_init 0
		.amdhsa_user_sgpr_private_segment_size 0
		.amdhsa_wavefront_size32 1
		.amdhsa_uses_dynamic_stack 0
		.amdhsa_system_sgpr_private_segment_wavefront_offset 0
		.amdhsa_system_sgpr_workgroup_id_x 1
		.amdhsa_system_sgpr_workgroup_id_y 0
		.amdhsa_system_sgpr_workgroup_id_z 0
		.amdhsa_system_sgpr_workgroup_info 0
		.amdhsa_system_vgpr_workitem_id 0
		.amdhsa_next_free_vgpr 254
		.amdhsa_next_free_sgpr 36
		.amdhsa_reserve_vcc 1
		.amdhsa_reserve_flat_scratch 0
		.amdhsa_float_round_mode_32 0
		.amdhsa_float_round_mode_16_64 0
		.amdhsa_float_denorm_mode_32 3
		.amdhsa_float_denorm_mode_16_64 3
		.amdhsa_dx10_clamp 1
		.amdhsa_ieee_mode 1
		.amdhsa_fp16_overflow 0
		.amdhsa_workgroup_processor_mode 1
		.amdhsa_memory_ordered 1
		.amdhsa_forward_progress 0
		.amdhsa_shared_vgpr_count 0
		.amdhsa_exception_fp_ieee_invalid_op 0
		.amdhsa_exception_fp_denorm_src 0
		.amdhsa_exception_fp_ieee_div_zero 0
		.amdhsa_exception_fp_ieee_overflow 0
		.amdhsa_exception_fp_ieee_underflow 0
		.amdhsa_exception_fp_ieee_inexact 0
		.amdhsa_exception_int_div_zero 0
	.end_amdhsa_kernel
	.text
.Lfunc_end0:
	.size	fft_rtc_fwd_len1232_factors_2_2_2_2_11_7_wgs_176_tpt_176_halfLds_dp_ip_CI_unitstride_sbrr_C2R_dirReg, .Lfunc_end0-fft_rtc_fwd_len1232_factors_2_2_2_2_11_7_wgs_176_tpt_176_halfLds_dp_ip_CI_unitstride_sbrr_C2R_dirReg
                                        ; -- End function
	.section	.AMDGPU.csdata,"",@progbits
; Kernel info:
; codeLenInByte = 9316
; NumSgprs: 38
; NumVgprs: 254
; ScratchSize: 0
; MemoryBound: 0
; FloatMode: 240
; IeeeMode: 1
; LDSByteSize: 0 bytes/workgroup (compile time only)
; SGPRBlocks: 4
; VGPRBlocks: 31
; NumSGPRsForWavesPerEU: 38
; NumVGPRsForWavesPerEU: 254
; Occupancy: 4
; WaveLimiterHint : 1
; COMPUTE_PGM_RSRC2:SCRATCH_EN: 0
; COMPUTE_PGM_RSRC2:USER_SGPR: 6
; COMPUTE_PGM_RSRC2:TRAP_HANDLER: 0
; COMPUTE_PGM_RSRC2:TGID_X_EN: 1
; COMPUTE_PGM_RSRC2:TGID_Y_EN: 0
; COMPUTE_PGM_RSRC2:TGID_Z_EN: 0
; COMPUTE_PGM_RSRC2:TIDIG_COMP_CNT: 0
	.text
	.p2alignl 6, 3214868480
	.fill 48, 4, 3214868480
	.type	__hip_cuid_7ea6e443e3a4dba9,@object ; @__hip_cuid_7ea6e443e3a4dba9
	.section	.bss,"aw",@nobits
	.globl	__hip_cuid_7ea6e443e3a4dba9
__hip_cuid_7ea6e443e3a4dba9:
	.byte	0                               ; 0x0
	.size	__hip_cuid_7ea6e443e3a4dba9, 1

	.ident	"AMD clang version 19.0.0git (https://github.com/RadeonOpenCompute/llvm-project roc-6.4.0 25133 c7fe45cf4b819c5991fe208aaa96edf142730f1d)"
	.section	".note.GNU-stack","",@progbits
	.addrsig
	.addrsig_sym __hip_cuid_7ea6e443e3a4dba9
	.amdgpu_metadata
---
amdhsa.kernels:
  - .args:
      - .actual_access:  read_only
        .address_space:  global
        .offset:         0
        .size:           8
        .value_kind:     global_buffer
      - .offset:         8
        .size:           8
        .value_kind:     by_value
      - .actual_access:  read_only
        .address_space:  global
        .offset:         16
        .size:           8
        .value_kind:     global_buffer
      - .actual_access:  read_only
        .address_space:  global
        .offset:         24
        .size:           8
        .value_kind:     global_buffer
      - .offset:         32
        .size:           8
        .value_kind:     by_value
      - .actual_access:  read_only
        .address_space:  global
        .offset:         40
        .size:           8
        .value_kind:     global_buffer
      - .actual_access:  read_only
        .address_space:  global
        .offset:         48
        .size:           8
        .value_kind:     global_buffer
      - .offset:         56
        .size:           4
        .value_kind:     by_value
      - .actual_access:  read_only
        .address_space:  global
        .offset:         64
        .size:           8
        .value_kind:     global_buffer
      - .actual_access:  read_only
        .address_space:  global
        .offset:         72
        .size:           8
        .value_kind:     global_buffer
      - .address_space:  global
        .offset:         80
        .size:           8
        .value_kind:     global_buffer
    .group_segment_fixed_size: 0
    .kernarg_segment_align: 8
    .kernarg_segment_size: 88
    .language:       OpenCL C
    .language_version:
      - 2
      - 0
    .max_flat_workgroup_size: 176
    .name:           fft_rtc_fwd_len1232_factors_2_2_2_2_11_7_wgs_176_tpt_176_halfLds_dp_ip_CI_unitstride_sbrr_C2R_dirReg
    .private_segment_fixed_size: 0
    .sgpr_count:     38
    .sgpr_spill_count: 0
    .symbol:         fft_rtc_fwd_len1232_factors_2_2_2_2_11_7_wgs_176_tpt_176_halfLds_dp_ip_CI_unitstride_sbrr_C2R_dirReg.kd
    .uniform_work_group_size: 1
    .uses_dynamic_stack: false
    .vgpr_count:     254
    .vgpr_spill_count: 0
    .wavefront_size: 32
    .workgroup_processor_mode: 1
amdhsa.target:   amdgcn-amd-amdhsa--gfx1030
amdhsa.version:
  - 1
  - 2
...

	.end_amdgpu_metadata
